;; amdgpu-corpus repo=ROCm/rocFFT kind=compiled arch=gfx1030 opt=O3
	.text
	.amdgcn_target "amdgcn-amd-amdhsa--gfx1030"
	.amdhsa_code_object_version 6
	.protected	fft_rtc_back_len3072_factors_6_4_4_4_4_2_wgs_256_tpt_256_halfLds_dp_op_CI_CI_unitstride_sbrr_R2C_dirReg ; -- Begin function fft_rtc_back_len3072_factors_6_4_4_4_4_2_wgs_256_tpt_256_halfLds_dp_op_CI_CI_unitstride_sbrr_R2C_dirReg
	.globl	fft_rtc_back_len3072_factors_6_4_4_4_4_2_wgs_256_tpt_256_halfLds_dp_op_CI_CI_unitstride_sbrr_R2C_dirReg
	.p2align	8
	.type	fft_rtc_back_len3072_factors_6_4_4_4_4_2_wgs_256_tpt_256_halfLds_dp_op_CI_CI_unitstride_sbrr_R2C_dirReg,@function
fft_rtc_back_len3072_factors_6_4_4_4_4_2_wgs_256_tpt_256_halfLds_dp_op_CI_CI_unitstride_sbrr_R2C_dirReg: ; @fft_rtc_back_len3072_factors_6_4_4_4_4_2_wgs_256_tpt_256_halfLds_dp_op_CI_CI_unitstride_sbrr_R2C_dirReg
; %bb.0:
	s_clause 0x2
	s_load_dwordx4 s[12:15], s[4:5], 0x0
	s_load_dwordx4 s[8:11], s[4:5], 0x58
	;; [unrolled: 1-line block ×3, first 2 shown]
	v_mov_b32_e32 v4, 0
	v_mov_b32_e32 v2, 0
	v_mov_b32_e32 v6, s6
	v_mov_b32_e32 v3, 0
	v_mov_b32_e32 v7, v4
	s_waitcnt lgkmcnt(0)
	v_cmp_lt_u64_e64 s0, s[14:15], 2
	s_and_b32 vcc_lo, exec_lo, s0
	s_cbranch_vccnz .LBB0_8
; %bb.1:
	s_load_dwordx2 s[0:1], s[4:5], 0x10
	v_mov_b32_e32 v2, 0
	v_mov_b32_e32 v3, 0
	s_add_u32 s2, s18, 8
	s_addc_u32 s3, s19, 0
	s_add_u32 s6, s16, 8
	s_addc_u32 s7, s17, 0
	v_mov_b32_e32 v10, v3
	v_mov_b32_e32 v9, v2
	s_mov_b64 s[22:23], 1
	s_waitcnt lgkmcnt(0)
	s_add_u32 s20, s0, 8
	s_addc_u32 s21, s1, 0
.LBB0_2:                                ; =>This Inner Loop Header: Depth=1
	s_load_dwordx2 s[24:25], s[20:21], 0x0
                                        ; implicit-def: $vgpr11_vgpr12
	s_mov_b32 s0, exec_lo
	s_waitcnt lgkmcnt(0)
	v_or_b32_e32 v5, s25, v7
	v_cmpx_ne_u64_e32 0, v[4:5]
	s_xor_b32 s1, exec_lo, s0
	s_cbranch_execz .LBB0_4
; %bb.3:                                ;   in Loop: Header=BB0_2 Depth=1
	v_cvt_f32_u32_e32 v1, s24
	v_cvt_f32_u32_e32 v5, s25
	s_sub_u32 s0, 0, s24
	s_subb_u32 s26, 0, s25
	v_fmac_f32_e32 v1, 0x4f800000, v5
	v_rcp_f32_e32 v1, v1
	v_mul_f32_e32 v1, 0x5f7ffffc, v1
	v_mul_f32_e32 v5, 0x2f800000, v1
	v_trunc_f32_e32 v5, v5
	v_fmac_f32_e32 v1, 0xcf800000, v5
	v_cvt_u32_f32_e32 v5, v5
	v_cvt_u32_f32_e32 v1, v1
	v_mul_lo_u32 v8, s0, v5
	v_mul_hi_u32 v11, s0, v1
	v_mul_lo_u32 v12, s26, v1
	v_add_nc_u32_e32 v8, v11, v8
	v_mul_lo_u32 v11, s0, v1
	v_add_nc_u32_e32 v8, v8, v12
	v_mul_hi_u32 v12, v1, v11
	v_mul_lo_u32 v13, v1, v8
	v_mul_hi_u32 v14, v1, v8
	v_mul_hi_u32 v15, v5, v11
	v_mul_lo_u32 v11, v5, v11
	v_mul_hi_u32 v16, v5, v8
	v_mul_lo_u32 v8, v5, v8
	v_add_co_u32 v12, vcc_lo, v12, v13
	v_add_co_ci_u32_e32 v13, vcc_lo, 0, v14, vcc_lo
	v_add_co_u32 v11, vcc_lo, v12, v11
	v_add_co_ci_u32_e32 v11, vcc_lo, v13, v15, vcc_lo
	v_add_co_ci_u32_e32 v12, vcc_lo, 0, v16, vcc_lo
	v_add_co_u32 v8, vcc_lo, v11, v8
	v_add_co_ci_u32_e32 v11, vcc_lo, 0, v12, vcc_lo
	v_add_co_u32 v1, vcc_lo, v1, v8
	v_add_co_ci_u32_e32 v5, vcc_lo, v5, v11, vcc_lo
	v_mul_hi_u32 v8, s0, v1
	v_mul_lo_u32 v12, s26, v1
	v_mul_lo_u32 v11, s0, v5
	v_add_nc_u32_e32 v8, v8, v11
	v_mul_lo_u32 v11, s0, v1
	v_add_nc_u32_e32 v8, v8, v12
	v_mul_hi_u32 v12, v1, v11
	v_mul_lo_u32 v13, v1, v8
	v_mul_hi_u32 v14, v1, v8
	v_mul_hi_u32 v15, v5, v11
	v_mul_lo_u32 v11, v5, v11
	v_mul_hi_u32 v16, v5, v8
	v_mul_lo_u32 v8, v5, v8
	v_add_co_u32 v12, vcc_lo, v12, v13
	v_add_co_ci_u32_e32 v13, vcc_lo, 0, v14, vcc_lo
	v_add_co_u32 v11, vcc_lo, v12, v11
	v_add_co_ci_u32_e32 v11, vcc_lo, v13, v15, vcc_lo
	v_add_co_ci_u32_e32 v12, vcc_lo, 0, v16, vcc_lo
	v_add_co_u32 v8, vcc_lo, v11, v8
	v_add_co_ci_u32_e32 v11, vcc_lo, 0, v12, vcc_lo
	v_add_co_u32 v1, vcc_lo, v1, v8
	v_add_co_ci_u32_e32 v5, vcc_lo, v5, v11, vcc_lo
	v_mul_hi_u32 v8, v6, v1
	v_mad_u64_u32 v[13:14], null, v7, v1, 0
	v_mad_u64_u32 v[11:12], null, v6, v5, 0
	;; [unrolled: 1-line block ×3, first 2 shown]
	v_add_co_u32 v1, vcc_lo, v8, v11
	v_add_co_ci_u32_e32 v5, vcc_lo, 0, v12, vcc_lo
	v_add_co_u32 v1, vcc_lo, v1, v13
	v_add_co_ci_u32_e32 v1, vcc_lo, v5, v14, vcc_lo
	v_add_co_ci_u32_e32 v5, vcc_lo, 0, v16, vcc_lo
	v_add_co_u32 v1, vcc_lo, v1, v15
	v_add_co_ci_u32_e32 v5, vcc_lo, 0, v5, vcc_lo
	v_mul_lo_u32 v8, s25, v1
	v_mad_u64_u32 v[11:12], null, s24, v1, 0
	v_mul_lo_u32 v13, s24, v5
	v_sub_co_u32 v11, vcc_lo, v6, v11
	v_add3_u32 v8, v12, v13, v8
	v_sub_nc_u32_e32 v12, v7, v8
	v_subrev_co_ci_u32_e64 v12, s0, s25, v12, vcc_lo
	v_add_co_u32 v13, s0, v1, 2
	v_add_co_ci_u32_e64 v14, s0, 0, v5, s0
	v_sub_co_u32 v15, s0, v11, s24
	v_sub_co_ci_u32_e32 v8, vcc_lo, v7, v8, vcc_lo
	v_subrev_co_ci_u32_e64 v12, s0, 0, v12, s0
	v_cmp_le_u32_e32 vcc_lo, s24, v15
	v_cmp_eq_u32_e64 s0, s25, v8
	v_cndmask_b32_e64 v15, 0, -1, vcc_lo
	v_cmp_le_u32_e32 vcc_lo, s25, v12
	v_cndmask_b32_e64 v16, 0, -1, vcc_lo
	v_cmp_le_u32_e32 vcc_lo, s24, v11
	;; [unrolled: 2-line block ×3, first 2 shown]
	v_cndmask_b32_e64 v17, 0, -1, vcc_lo
	v_cmp_eq_u32_e32 vcc_lo, s25, v12
	v_cndmask_b32_e64 v8, v17, v11, s0
	v_cndmask_b32_e32 v12, v16, v15, vcc_lo
	v_add_co_u32 v15, vcc_lo, v1, 1
	v_add_co_ci_u32_e32 v16, vcc_lo, 0, v5, vcc_lo
	v_cmp_ne_u32_e32 vcc_lo, 0, v12
	v_cndmask_b32_e32 v11, v16, v14, vcc_lo
	v_cndmask_b32_e32 v13, v15, v13, vcc_lo
	v_cmp_ne_u32_e32 vcc_lo, 0, v8
	v_cndmask_b32_e32 v12, v5, v11, vcc_lo
	v_cndmask_b32_e32 v11, v1, v13, vcc_lo
.LBB0_4:                                ;   in Loop: Header=BB0_2 Depth=1
	s_andn2_saveexec_b32 s0, s1
	s_cbranch_execz .LBB0_6
; %bb.5:                                ;   in Loop: Header=BB0_2 Depth=1
	v_cvt_f32_u32_e32 v1, s24
	s_sub_i32 s1, 0, s24
	v_mov_b32_e32 v12, v4
	v_rcp_iflag_f32_e32 v1, v1
	v_mul_f32_e32 v1, 0x4f7ffffe, v1
	v_cvt_u32_f32_e32 v1, v1
	v_mul_lo_u32 v5, s1, v1
	v_mul_hi_u32 v5, v1, v5
	v_add_nc_u32_e32 v1, v1, v5
	v_mul_hi_u32 v1, v6, v1
	v_mul_lo_u32 v5, v1, s24
	v_add_nc_u32_e32 v8, 1, v1
	v_sub_nc_u32_e32 v5, v6, v5
	v_subrev_nc_u32_e32 v11, s24, v5
	v_cmp_le_u32_e32 vcc_lo, s24, v5
	v_cndmask_b32_e32 v5, v5, v11, vcc_lo
	v_cndmask_b32_e32 v1, v1, v8, vcc_lo
	v_cmp_le_u32_e32 vcc_lo, s24, v5
	v_add_nc_u32_e32 v8, 1, v1
	v_cndmask_b32_e32 v11, v1, v8, vcc_lo
.LBB0_6:                                ;   in Loop: Header=BB0_2 Depth=1
	s_or_b32 exec_lo, exec_lo, s0
	v_mul_lo_u32 v1, v12, s24
	v_mul_lo_u32 v5, v11, s25
	s_load_dwordx2 s[0:1], s[6:7], 0x0
	v_mad_u64_u32 v[13:14], null, v11, s24, 0
	s_load_dwordx2 s[24:25], s[2:3], 0x0
	s_add_u32 s22, s22, 1
	s_addc_u32 s23, s23, 0
	s_add_u32 s2, s2, 8
	s_addc_u32 s3, s3, 0
	s_add_u32 s6, s6, 8
	v_add3_u32 v1, v14, v5, v1
	v_sub_co_u32 v5, vcc_lo, v6, v13
	s_addc_u32 s7, s7, 0
	s_add_u32 s20, s20, 8
	v_sub_co_ci_u32_e32 v1, vcc_lo, v7, v1, vcc_lo
	s_addc_u32 s21, s21, 0
	s_waitcnt lgkmcnt(0)
	v_mul_lo_u32 v6, s0, v1
	v_mul_lo_u32 v7, s1, v5
	v_mad_u64_u32 v[2:3], null, s0, v5, v[2:3]
	v_mul_lo_u32 v1, s24, v1
	v_mul_lo_u32 v8, s25, v5
	v_mad_u64_u32 v[9:10], null, s24, v5, v[9:10]
	v_cmp_ge_u64_e64 s0, s[22:23], s[14:15]
	v_add3_u32 v3, v7, v3, v6
	v_add3_u32 v10, v8, v10, v1
	s_and_b32 vcc_lo, exec_lo, s0
	s_cbranch_vccnz .LBB0_9
; %bb.7:                                ;   in Loop: Header=BB0_2 Depth=1
	v_mov_b32_e32 v6, v11
	v_mov_b32_e32 v7, v12
	s_branch .LBB0_2
.LBB0_8:
	v_mov_b32_e32 v10, v3
	v_mov_b32_e32 v12, v7
	;; [unrolled: 1-line block ×4, first 2 shown]
.LBB0_9:
	s_load_dwordx2 s[0:1], s[4:5], 0x28
	s_lshl_b64 s[4:5], s[14:15], 3
	v_or_b32_e32 v13, 0x100, v0
	v_or_b32_e32 v17, 0x300, v0
	;; [unrolled: 1-line block ×5, first 2 shown]
	s_add_u32 s2, s18, s4
	s_addc_u32 s3, s19, s5
	s_waitcnt lgkmcnt(0)
	v_cmp_gt_u64_e32 vcc_lo, s[0:1], v[11:12]
	v_cmp_le_u64_e64 s0, s[0:1], v[11:12]
	s_and_saveexec_b32 s1, s0
	s_xor_b32 s0, exec_lo, s1
; %bb.10:
	v_mov_b32_e32 v1, 0
	v_or_b32_e32 v13, 0x100, v0
	v_or_b32_e32 v17, 0x300, v0
	;; [unrolled: 1-line block ×5, first 2 shown]
	v_mov_b32_e32 v14, v1
	v_mov_b32_e32 v20, v1
	;; [unrolled: 1-line block ×5, first 2 shown]
                                        ; implicit-def: $vgpr2_vgpr3
; %bb.11:
	s_andn2_saveexec_b32 s1, s0
	s_cbranch_execz .LBB0_13
; %bb.12:
	s_add_u32 s4, s16, s4
	s_addc_u32 s5, s17, s5
	v_lshlrev_b64 v[1:2], 4, v[2:3]
	s_load_dwordx2 s[4:5], s[4:5], 0x0
	v_lshlrev_b32_e32 v14, 4, v0
	v_lshlrev_b32_e32 v16, 4, v13
	;; [unrolled: 1-line block ×6, first 2 shown]
	v_or_b32_e32 v27, 0x6000, v14
	v_or_b32_e32 v66, 0x7000, v14
	;; [unrolled: 1-line block ×6, first 2 shown]
	s_waitcnt lgkmcnt(0)
	v_mul_lo_u32 v7, s5, v11
	v_mul_lo_u32 v8, s4, v12
	v_mad_u64_u32 v[4:5], null, s4, v11, 0
	v_add3_u32 v5, v5, v8, v7
	v_lshlrev_b64 v[3:4], 4, v[4:5]
	v_add_co_u32 v3, s0, s8, v3
	v_add_co_ci_u32_e64 v4, s0, s9, v4, s0
	v_add_co_u32 v35, s0, v3, v1
	v_add_co_ci_u32_e64 v36, s0, v4, v2, s0
	v_add_co_u32 v1, s0, v35, v14
	v_add_co_ci_u32_e64 v2, s0, 0, v36, s0
	v_add_co_u32 v7, s0, v35, v16
	v_add_co_ci_u32_e64 v8, s0, 0, v36, s0
	v_add_co_u32 v25, s0, v35, v18
	v_add_co_ci_u32_e64 v26, s0, 0, v36, s0
	v_add_co_u32 v29, s0, v35, v65
	v_add_co_ci_u32_e64 v30, s0, 0, v36, s0
	v_add_co_u32 v33, s0, v35, v20
	v_add_co_ci_u32_e64 v34, s0, 0, v36, s0
	v_add_co_u32 v37, s0, v35, v21
	v_add_co_ci_u32_e64 v38, s0, 0, v36, s0
	s_clause 0x1
	global_load_dwordx4 v[2:5], v[1:2], off
	global_load_dwordx4 v[21:24], v[7:8], off
	v_add_co_u32 v7, s0, v35, v27
	v_add_co_ci_u32_e64 v8, s0, 0, v36, s0
	v_add_co_u32 v45, s0, v35, v66
	v_add_co_ci_u32_e64 v46, s0, 0, v36, s0
	;; [unrolled: 2-line block ×6, first 2 shown]
	s_clause 0x9
	global_load_dwordx4 v[25:28], v[25:26], off
	global_load_dwordx4 v[29:32], v[29:30], off
	;; [unrolled: 1-line block ×10, first 2 shown]
	v_mov_b32_e32 v1, 0
	v_add_nc_u32_e32 v8, 0, v14
	v_add_nc_u32_e32 v65, 0, v65
	;; [unrolled: 1-line block ×4, first 2 shown]
	v_mov_b32_e32 v14, v1
	v_mov_b32_e32 v20, v1
	;; [unrolled: 1-line block ×5, first 2 shown]
	s_waitcnt vmcnt(11)
	ds_write_b128 v8, v[2:5]
	s_waitcnt vmcnt(10)
	ds_write_b128 v8, v[21:24] offset:4096
	s_waitcnt vmcnt(9)
	ds_write_b128 v8, v[25:28] offset:8192
	s_waitcnt vmcnt(8)
	ds_write_b128 v65, v[29:32]
	s_waitcnt vmcnt(7)
	ds_write_b128 v8, v[33:36] offset:16384
	s_waitcnt vmcnt(6)
	ds_write_b128 v8, v[37:40] offset:20480
	s_waitcnt vmcnt(5)
	ds_write_b128 v8, v[41:44] offset:24576
	s_waitcnt vmcnt(4)
	ds_write_b128 v66, v[45:48]
	s_waitcnt vmcnt(3)
	ds_write_b128 v8, v[49:52] offset:32768
	s_waitcnt vmcnt(2)
	ds_write_b128 v8, v[53:56] offset:36864
	;; [unrolled: 2-line block ×3, first 2 shown]
	s_waitcnt vmcnt(0)
	ds_write_b128 v67, v[61:64]
.LBB0_13:
	s_or_b32 exec_lo, exec_lo, s1
	v_lshlrev_b32_e32 v26, 4, v0
	s_load_dwordx2 s[2:3], s[2:3], 0x0
	s_waitcnt lgkmcnt(0)
	s_barrier
	buffer_gl0_inv
	v_add_nc_u32_e32 v28, 0, v26
	s_mov_b32 s0, 0xe8584caa
	s_mov_b32 s1, 0xbfebb67a
	;; [unrolled: 1-line block ×4, first 2 shown]
	ds_read_b128 v[2:5], v28 offset:40960
	ds_read_b128 v[29:32], v28 offset:24576
	;; [unrolled: 1-line block ×6, first 2 shown]
	ds_read_b128 v[49:52], v28
	ds_read_b128 v[53:56], v28 offset:16384
	ds_read_b128 v[57:60], v28 offset:32768
	;; [unrolled: 1-line block ×5, first 2 shown]
	v_mul_lo_u16 v8, 0xab, v0
	v_mul_i32_i24_e32 v27, 6, v13
	s_waitcnt lgkmcnt(0)
	s_barrier
	buffer_gl0_inv
	v_add_f64 v[21:22], v[31:32], v[4:5]
	v_add_f64 v[73:74], v[29:30], v[2:3]
	;; [unrolled: 1-line block ×3, first 2 shown]
	v_add_f64 v[75:76], v[29:30], -v[2:3]
	v_add_f64 v[79:80], v[33:34], v[37:38]
	v_add_f64 v[81:82], v[33:34], -v[37:38]
	v_add_f64 v[83:84], v[49:50], v[53:54]
	v_add_f64 v[29:30], v[41:42], v[29:30]
	v_add_f64 v[87:88], v[53:54], v[57:58]
	v_add_f64 v[89:90], v[55:56], v[59:60]
	v_add_f64 v[85:86], v[51:52], v[55:56]
	v_add_f64 v[91:92], v[61:62], v[65:66]
	v_add_f64 v[93:94], v[63:64], v[67:68]
	v_add_f64 v[33:34], v[45:46], v[33:34]
	v_add_f64 v[55:56], v[55:56], -v[59:60]
	v_add_f64 v[53:54], v[53:54], -v[57:58]
	v_add_f64 v[95:96], v[71:72], v[63:64]
	v_add_f64 v[63:64], v[63:64], -v[67:68]
	v_fma_f64 v[77:78], v[21:22], -0.5, v[43:44]
	v_add_f64 v[43:44], v[43:44], v[31:32]
	v_fma_f64 v[23:24], v[23:24], -0.5, v[47:48]
	v_add_f64 v[31:32], v[31:32], -v[4:5]
	v_fma_f64 v[41:42], v[73:74], -0.5, v[41:42]
	v_add_f64 v[47:48], v[47:48], v[35:36]
	v_add_f64 v[35:36], v[35:36], -v[39:40]
	v_fma_f64 v[45:46], v[79:80], -0.5, v[45:46]
	v_add_f64 v[57:58], v[83:84], v[57:58]
	v_fma_f64 v[49:50], v[87:88], -0.5, v[49:50]
	v_fma_f64 v[51:52], v[89:90], -0.5, v[51:52]
	v_add_f64 v[79:80], v[69:70], v[61:62]
	v_add_f64 v[61:62], v[61:62], -v[65:66]
	v_add_f64 v[59:60], v[85:86], v[59:60]
	v_fma_f64 v[69:70], v[91:92], -0.5, v[69:70]
	v_fma_f64 v[71:72], v[93:94], -0.5, v[71:72]
	v_add_f64 v[29:30], v[29:30], v[2:3]
	v_add_f64 v[67:68], v[95:96], v[67:68]
	v_lshrrev_b16 v22, 10, v8
	v_mov_b32_e32 v21, 3
	v_fma_f64 v[73:74], v[75:76], s[4:5], v[77:78]
	v_fma_f64 v[75:76], v[75:76], s[0:1], v[77:78]
	;; [unrolled: 1-line block ×6, first 2 shown]
	v_add_f64 v[43:44], v[43:44], v[4:5]
	v_fma_f64 v[85:86], v[35:36], s[0:1], v[45:46]
	v_fma_f64 v[35:36], v[35:36], s[4:5], v[45:46]
	;; [unrolled: 1-line block ×5, first 2 shown]
	v_add_f64 v[47:48], v[47:48], v[39:40]
	v_add_f64 v[65:66], v[79:80], v[65:66]
	;; [unrolled: 1-line block ×3, first 2 shown]
	v_fma_f64 v[91:92], v[63:64], s[0:1], v[69:70]
	v_fma_f64 v[95:96], v[63:64], s[4:5], v[69:70]
	;; [unrolled: 1-line block ×3, first 2 shown]
	v_add_f64 v[2:3], v[57:58], v[29:30]
	v_mul_lo_u16 v99, v22, 6
	v_mul_f64 v[83:84], v[73:74], s[0:1]
	v_mul_f64 v[73:74], v[73:74], 0.5
	v_mul_f64 v[41:42], v[75:76], s[0:1]
	v_mul_f64 v[75:76], v[75:76], -0.5
	v_mul_f64 v[87:88], v[77:78], s[0:1]
	v_mul_f64 v[77:78], v[77:78], 0.5
	v_mul_f64 v[45:46], v[23:24], s[0:1]
	v_mul_f64 v[23:24], v[23:24], -0.5
	v_add_f64 v[4:5], v[59:60], v[43:44]
	v_add_f64 v[33:34], v[59:60], -v[43:44]
	v_add_f64 v[37:38], v[67:68], v[47:48]
	v_add_f64 v[39:40], v[65:66], -v[79:80]
	v_fma_f64 v[83:84], v[81:82], 0.5, v[83:84]
	v_fma_f64 v[73:74], v[81:82], s[4:5], v[73:74]
	v_fma_f64 v[81:82], v[53:54], s[0:1], v[51:52]
	v_fma_f64 v[93:94], v[31:32], -0.5, v[41:42]
	v_fma_f64 v[75:76], v[31:32], s[4:5], v[75:76]
	v_fma_f64 v[63:64], v[85:86], 0.5, v[87:88]
	v_fma_f64 v[77:78], v[85:86], s[4:5], v[77:78]
	v_fma_f64 v[85:86], v[61:62], s[0:1], v[71:72]
	v_fma_f64 v[71:72], v[35:36], -0.5, v[45:46]
	v_fma_f64 v[24:25], v[35:36], s[4:5], v[23:24]
	v_add_f64 v[31:32], v[57:58], -v[29:30]
	v_add_f64 v[41:42], v[67:68], -v[47:48]
	v_add_f64 v[35:36], v[65:66], v[79:80]
	v_sub_nc_u16 v23, v0, v99
	v_lshl_add_u32 v30, v27, 4, 0
	v_lshl_add_u32 v29, v17, 4, 0
	s_add_u32 s1, s12, 0xbfa0
	s_addc_u32 s4, s13, 0
	s_mov_b32 s5, exec_lo
	v_add_f64 v[43:44], v[89:90], v[83:84]
	v_add_f64 v[45:46], v[49:50], v[73:74]
	v_add_f64 v[47:48], v[89:90], -v[83:84]
	v_add_f64 v[51:52], v[55:56], v[93:94]
	v_add_f64 v[53:54], v[81:82], v[75:76]
	v_add_f64 v[49:50], v[49:50], -v[73:74]
	v_add_f64 v[55:56], v[55:56], -v[93:94]
	;; [unrolled: 1-line block ×3, first 2 shown]
	v_add_f64 v[59:60], v[91:92], v[63:64]
	v_add_f64 v[61:62], v[97:98], v[77:78]
	;; [unrolled: 1-line block ×4, first 2 shown]
	v_add_f64 v[63:64], v[91:92], -v[63:64]
	v_add_f64 v[65:66], v[97:98], -v[77:78]
	;; [unrolled: 1-line block ×4, first 2 shown]
	v_mul_u32_u24_sdwa v24, v23, v21 dst_sel:DWORD dst_unused:UNUSED_PAD src0_sel:BYTE_0 src1_sel:DWORD
	v_mad_u32_u24 v25, 0x50, v0, v28
	ds_write_b128 v25, v[2:5]
	ds_write_b128 v25, v[31:34] offset:48
	ds_write_b128 v25, v[43:46] offset:16
	;; [unrolled: 1-line block ×5, first 2 shown]
	ds_write_b128 v30, v[35:38]
	ds_write_b128 v30, v[59:62] offset:16
	ds_write_b128 v30, v[67:70] offset:32
	ds_write_b128 v30, v[39:42] offset:48
	ds_write_b128 v30, v[63:66] offset:64
	ds_write_b128 v30, v[71:74] offset:80
	v_lshlrev_b32_e32 v24, 4, v24
	s_waitcnt lgkmcnt(0)
	s_barrier
	buffer_gl0_inv
	s_clause 0x1
	global_load_dwordx4 v[31:34], v24, s[12:13]
	global_load_dwordx4 v[35:38], v24, s[12:13] offset:16
	v_mov_b32_e32 v2, 0xaaab
	global_load_dwordx4 v[39:42], v24, s[12:13] offset:32
	v_mul_u32_u24_sdwa v4, v13, v2 dst_sel:DWORD dst_unused:UNUSED_PAD src0_sel:WORD_0 src1_sel:DWORD
	v_lshrrev_b32_e32 v25, 18, v4
	v_mul_lo_u16 v3, v25, 6
	v_sub_nc_u16 v27, v13, v3
	v_mov_b32_e32 v3, 4
	v_mul_lo_u16 v5, v27, 3
	v_lshlrev_b32_sdwa v24, v3, v5 dst_sel:DWORD dst_unused:UNUSED_PAD src0_sel:DWORD src1_sel:WORD_0
	s_clause 0x1
	global_load_dwordx4 v[43:46], v24, s[12:13]
	global_load_dwordx4 v[47:50], v24, s[12:13] offset:16
	v_mul_u32_u24_sdwa v5, v19, v2 dst_sel:DWORD dst_unused:UNUSED_PAD src0_sel:WORD_0 src1_sel:DWORD
	global_load_dwordx4 v[51:54], v24, s[12:13] offset:32
	v_lshrrev_b16 v24, 12, v8
	v_lshrrev_b16 v8, 14, v8
	v_lshrrev_b32_e32 v97, 18, v5
	v_mul_lo_u16 v2, v97, 6
	v_sub_nc_u16 v98, v19, v2
	v_mul_lo_u16 v2, v98, 3
	v_lshlrev_b32_sdwa v2, v3, v2 dst_sel:DWORD dst_unused:UNUSED_PAD src0_sel:DWORD src1_sel:WORD_0
	s_clause 0x2
	global_load_dwordx4 v[55:58], v2, s[12:13]
	global_load_dwordx4 v[59:62], v2, s[12:13] offset:16
	global_load_dwordx4 v[63:66], v2, s[12:13] offset:32
	ds_read_b128 v[67:70], v29
	ds_read_b128 v[71:74], v28 offset:24576
	ds_read_b128 v[75:78], v28 offset:28672
	;; [unrolled: 1-line block ×4, first 2 shown]
	v_mad_i32_i24 v2, 0xffffffb0, v13, v30
	s_waitcnt vmcnt(8) lgkmcnt(4)
	v_mul_f64 v[87:88], v[69:70], v[33:34]
	v_mul_f64 v[33:34], v[67:68], v[33:34]
	s_waitcnt vmcnt(7) lgkmcnt(3)
	v_mul_f64 v[89:90], v[73:74], v[37:38]
	v_mul_f64 v[37:38], v[71:72], v[37:38]
	v_fma_f64 v[87:88], v[67:68], v[31:32], v[87:88]
	v_fma_f64 v[91:92], v[69:70], v[31:32], -v[33:34]
	ds_read_b128 v[67:70], v28 offset:32768
	s_waitcnt vmcnt(6) lgkmcnt(2)
	v_mul_f64 v[93:94], v[85:86], v[41:42]
	v_mul_f64 v[41:42], v[83:84], v[41:42]
	v_fma_f64 v[71:72], v[71:72], v[35:36], v[89:90]
	v_fma_f64 v[73:74], v[73:74], v[35:36], -v[37:38]
	ds_read_b128 v[31:34], v28 offset:16384
	ds_read_b128 v[35:38], v28
	v_fma_f64 v[83:84], v[83:84], v[39:40], v[93:94]
	v_fma_f64 v[85:86], v[85:86], v[39:40], -v[41:42]
	s_waitcnt vmcnt(5) lgkmcnt(1)
	v_mul_f64 v[39:40], v[33:34], v[45:46]
	v_mul_f64 v[41:42], v[31:32], v[45:46]
	s_waitcnt vmcnt(4)
	v_mul_f64 v[45:46], v[77:78], v[49:50]
	v_mul_f64 v[49:50], v[75:76], v[49:50]
	v_fma_f64 v[89:90], v[31:32], v[43:44], v[39:40]
	v_fma_f64 v[93:94], v[33:34], v[43:44], -v[41:42]
	ds_read_b128 v[31:34], v28 offset:40960
	ds_read_b128 v[39:42], v28 offset:45056
	v_fma_f64 v[75:76], v[75:76], v[47:48], v[45:46]
	v_fma_f64 v[77:78], v[77:78], v[47:48], -v[49:50]
	s_waitcnt vmcnt(2)
	v_mul_f64 v[47:48], v[81:82], v[57:58]
	v_mul_f64 v[49:50], v[79:80], v[57:58]
	s_waitcnt vmcnt(1)
	v_mul_f64 v[57:58], v[67:68], v[61:62]
	s_waitcnt lgkmcnt(1)
	v_mul_f64 v[43:44], v[33:34], v[53:54]
	v_mul_f64 v[45:46], v[31:32], v[53:54]
	v_fma_f64 v[79:80], v[79:80], v[55:56], v[47:48]
	v_fma_f64 v[55:56], v[81:82], v[55:56], -v[49:50]
	v_fma_f64 v[57:58], v[69:70], v[59:60], -v[57:58]
	v_fma_f64 v[53:54], v[31:32], v[51:52], v[43:44]
	v_fma_f64 v[32:33], v[33:34], v[51:52], -v[45:46]
	v_mul_f64 v[51:52], v[69:70], v[61:62]
	s_waitcnt vmcnt(0) lgkmcnt(0)
	v_mul_f64 v[61:62], v[41:42], v[65:66]
	v_mul_f64 v[65:66], v[39:40], v[65:66]
	v_lshl_add_u32 v31, v19, 4, 0
	ds_read_b128 v[43:46], v2
	ds_read_b128 v[47:50], v31
	s_waitcnt lgkmcnt(0)
	s_barrier
	buffer_gl0_inv
	v_add_f64 v[53:54], v[89:90], -v[53:54]
	v_add_f64 v[69:70], v[93:94], -v[32:33]
	v_fma_f64 v[51:52], v[67:68], v[59:60], v[51:52]
	v_fma_f64 v[39:40], v[39:40], v[63:64], v[61:62]
	v_fma_f64 v[41:42], v[41:42], v[63:64], -v[65:66]
	v_add_f64 v[59:60], v[35:36], -v[71:72]
	v_add_f64 v[61:62], v[37:38], -v[73:74]
	;; [unrolled: 1-line block ×10, first 2 shown]
	v_fma_f64 v[76:77], v[35:36], 2.0, -v[59:60]
	v_fma_f64 v[83:84], v[37:38], 2.0, -v[61:62]
	;; [unrolled: 1-line block ×9, first 2 shown]
	v_add_f64 v[32:33], v[59:60], v[65:66]
	v_add_f64 v[34:35], v[61:62], -v[63:64]
	v_add_f64 v[36:37], v[67:68], v[69:70]
	v_mul_lo_u16 v63, v97, 24
	v_fma_f64 v[93:94], v[47:48], 2.0, -v[74:75]
	v_fma_f64 v[78:79], v[79:80], 2.0, -v[57:58]
	v_fma_f64 v[55:56], v[55:56], 2.0, -v[51:52]
	v_add_f64 v[48:49], v[74:75], v[51:52]
	v_add_f64 v[50:51], v[81:82], -v[57:58]
	v_add_f64 v[40:41], v[76:77], -v[38:39]
	;; [unrolled: 1-line block ×4, first 2 shown]
	v_mul_lo_u16 v57, v24, 24
	v_add_f64 v[44:45], v[87:88], -v[44:45]
	v_add_f64 v[46:47], v[91:92], -v[89:90]
	v_mul_lo_u16 v58, v25, 24
	v_or_b32_e32 v80, v63, v98
	v_sub_nc_u16 v25, v0, v57
	v_or_b32_e32 v27, v58, v27
	v_and_b32_e32 v80, 0xffff, v80
	v_and_b32_e32 v27, 0xffff, v27
	v_lshl_add_u32 v80, v80, 4, 0
	v_add_f64 v[52:53], v[93:94], -v[78:79]
	v_add_f64 v[54:55], v[95:96], -v[55:56]
	v_mov_b32_e32 v56, 24
	v_lshl_add_u32 v27, v27, 4, 0
	v_fma_f64 v[64:65], v[76:77], 2.0, -v[40:41]
	v_mul_u32_u24_sdwa v22, v22, v56 dst_sel:DWORD dst_unused:UNUSED_PAD src0_sel:WORD_0 src1_sel:DWORD
	v_fma_f64 v[56:57], v[59:60], 2.0, -v[32:33]
	v_fma_f64 v[58:59], v[61:62], 2.0, -v[34:35]
	;; [unrolled: 1-line block ×9, first 2 shown]
	v_or_b32_sdwa v22, v22, v23 dst_sel:DWORD dst_unused:UNUSED_PAD src0_sel:DWORD src1_sel:BYTE_0
	v_mul_u32_u24_sdwa v23, v25, v21 dst_sel:DWORD dst_unused:UNUSED_PAD src0_sel:BYTE_0 src1_sel:DWORD
	v_fma_f64 v[76:77], v[93:94], 2.0, -v[52:53]
	v_fma_f64 v[78:79], v[95:96], 2.0, -v[54:55]
	v_lshl_add_u32 v22, v22, 4, 0
	v_lshlrev_b32_e32 v23, 4, v23
	ds_write_b128 v22, v[32:35] offset:288
	ds_write_b128 v22, v[56:59] offset:96
	;; [unrolled: 1-line block ×3, first 2 shown]
	ds_write_b128 v22, v[64:67]
	ds_write_b128 v27, v[68:71]
	ds_write_b128 v27, v[60:63] offset:96
	ds_write_b128 v27, v[44:47] offset:192
	;; [unrolled: 1-line block ×3, first 2 shown]
	ds_write_b128 v80, v[76:79]
	ds_write_b128 v80, v[72:75] offset:96
	ds_write_b128 v80, v[52:55] offset:192
	;; [unrolled: 1-line block ×3, first 2 shown]
	s_waitcnt lgkmcnt(0)
	s_barrier
	buffer_gl0_inv
	s_clause 0x2
	global_load_dwordx4 v[32:35], v23, s[12:13] offset:288
	global_load_dwordx4 v[36:39], v23, s[12:13] offset:304
	;; [unrolled: 1-line block ×3, first 2 shown]
	v_lshrrev_b32_e32 v22, 20, v4
	v_lshrrev_b32_e32 v96, 20, v5
	v_mul_lo_u16 v23, v22, 24
	v_sub_nc_u16 v23, v13, v23
	v_mul_lo_u16 v27, v23, 3
	v_lshlrev_b32_sdwa v27, v3, v27 dst_sel:DWORD dst_unused:UNUSED_PAD src0_sel:DWORD src1_sel:WORD_0
	s_clause 0x2
	global_load_dwordx4 v[44:47], v27, s[12:13] offset:288
	global_load_dwordx4 v[48:51], v27, s[12:13] offset:304
	global_load_dwordx4 v[52:55], v27, s[12:13] offset:320
	v_mul_lo_u16 v27, v96, 24
	v_sub_nc_u16 v27, v19, v27
	v_mul_lo_u16 v56, v27, 3
	v_lshlrev_b32_sdwa v64, v3, v56 dst_sel:DWORD dst_unused:UNUSED_PAD src0_sel:DWORD src1_sel:WORD_0
	s_clause 0x2
	global_load_dwordx4 v[56:59], v64, s[12:13] offset:288
	global_load_dwordx4 v[60:63], v64, s[12:13] offset:304
	;; [unrolled: 1-line block ×3, first 2 shown]
	ds_read_b128 v[68:71], v29
	ds_read_b128 v[72:75], v28 offset:28672
	ds_read_b128 v[76:79], v28 offset:24576
	;; [unrolled: 1-line block ×3, first 2 shown]
	s_waitcnt vmcnt(8) lgkmcnt(3)
	v_mul_f64 v[84:85], v[70:71], v[34:35]
	v_mul_f64 v[34:35], v[68:69], v[34:35]
	s_waitcnt vmcnt(7) lgkmcnt(1)
	v_mul_f64 v[86:87], v[78:79], v[38:39]
	v_mul_f64 v[38:39], v[76:77], v[38:39]
	v_fma_f64 v[84:85], v[68:69], v[32:33], v[84:85]
	v_fma_f64 v[88:89], v[70:71], v[32:33], -v[34:35]
	ds_read_b128 v[32:35], v28 offset:36864
	ds_read_b128 v[68:71], v28 offset:32768
	v_fma_f64 v[76:77], v[76:77], v[36:37], v[86:87]
	v_fma_f64 v[78:79], v[78:79], v[36:37], -v[38:39]
	ds_read_b128 v[36:39], v28 offset:16384
	s_waitcnt vmcnt(6) lgkmcnt(2)
	v_mul_f64 v[90:91], v[34:35], v[42:43]
	v_mul_f64 v[42:43], v[32:33], v[42:43]
	v_fma_f64 v[86:87], v[32:33], v[40:41], v[90:91]
	v_fma_f64 v[90:91], v[34:35], v[40:41], -v[42:43]
	s_waitcnt vmcnt(5) lgkmcnt(0)
	v_mul_f64 v[40:41], v[38:39], v[46:47]
	v_mul_f64 v[42:43], v[36:37], v[46:47]
	ds_read_b128 v[32:35], v28
	s_waitcnt vmcnt(4)
	v_mul_f64 v[46:47], v[74:75], v[50:51]
	v_fma_f64 v[92:93], v[36:37], v[44:45], v[40:41]
	v_fma_f64 v[94:95], v[38:39], v[44:45], -v[42:43]
	ds_read_b128 v[36:39], v28 offset:40960
	v_mul_f64 v[40:41], v[72:73], v[50:51]
	v_fma_f64 v[50:51], v[72:73], v[48:49], v[46:47]
	s_waitcnt vmcnt(3) lgkmcnt(0)
	v_mul_f64 v[44:45], v[38:39], v[54:55]
	v_mul_f64 v[46:47], v[36:37], v[54:55]
	s_waitcnt vmcnt(2)
	v_mul_f64 v[54:55], v[82:83], v[58:59]
	v_fma_f64 v[48:49], v[74:75], v[48:49], -v[40:41]
	ds_read_b128 v[40:43], v28 offset:45056
	v_fma_f64 v[72:73], v[36:37], v[52:53], v[44:45]
	v_mul_f64 v[36:37], v[80:81], v[58:59]
	v_fma_f64 v[52:53], v[38:39], v[52:53], -v[46:47]
	s_waitcnt vmcnt(1)
	v_mul_f64 v[44:45], v[70:71], v[62:63]
	v_mul_f64 v[46:47], v[68:69], v[62:63]
	v_fma_f64 v[54:55], v[80:81], v[56:57], v[54:55]
	v_fma_f64 v[56:57], v[82:83], v[56:57], -v[36:37]
	ds_read_b128 v[36:39], v2
	s_waitcnt vmcnt(0) lgkmcnt(1)
	v_mul_f64 v[58:59], v[42:43], v[66:67]
	v_mul_f64 v[62:63], v[40:41], v[66:67]
	v_fma_f64 v[66:67], v[68:69], v[60:61], v[44:45]
	v_fma_f64 v[60:61], v[70:71], v[60:61], -v[46:47]
	ds_read_b128 v[44:47], v31
	v_add_f64 v[68:69], v[88:89], -v[90:91]
	s_waitcnt lgkmcnt(0)
	s_barrier
	buffer_gl0_inv
	v_add_f64 v[70:71], v[36:37], -v[50:51]
	v_add_f64 v[74:75], v[38:39], -v[48:49]
	;; [unrolled: 1-line block ×3, first 2 shown]
	v_fma_f64 v[40:41], v[40:41], v[64:65], v[58:59]
	v_fma_f64 v[42:43], v[42:43], v[64:65], -v[62:63]
	v_add_f64 v[58:59], v[32:33], -v[76:77]
	v_add_f64 v[62:63], v[34:35], -v[78:79]
	;; [unrolled: 1-line block ×6, first 2 shown]
	v_fma_f64 v[78:79], v[36:37], 2.0, -v[70:71]
	v_fma_f64 v[82:83], v[38:39], 2.0, -v[74:75]
	v_fma_f64 v[38:39], v[92:93], 2.0, -v[48:49]
	v_add_f64 v[60:61], v[54:55], -v[40:41]
	v_add_f64 v[52:53], v[56:57], -v[42:43]
	v_fma_f64 v[66:67], v[32:33], 2.0, -v[58:59]
	v_fma_f64 v[76:77], v[34:35], 2.0, -v[62:63]
	;; [unrolled: 1-line block ×7, first 2 shown]
	v_add_f64 v[32:33], v[58:59], v[68:69]
	v_add_f64 v[34:35], v[62:63], -v[64:65]
	v_add_f64 v[36:37], v[70:71], v[50:51]
	v_add_f64 v[44:45], v[78:79], -v[38:39]
	v_fma_f64 v[54:55], v[54:55], 2.0, -v[60:61]
	v_fma_f64 v[56:57], v[56:57], 2.0, -v[52:53]
	v_add_f64 v[38:39], v[74:75], -v[48:49]
	v_add_f64 v[48:49], v[72:73], v[52:53]
	v_add_f64 v[40:41], v[66:67], -v[40:41]
	v_add_f64 v[42:43], v[76:77], -v[42:43]
	;; [unrolled: 1-line block ×4, first 2 shown]
	v_mul_lo_u16 v60, 0x60, v22
	v_mul_lo_u16 v61, 0x60, v96
	v_or_b32_e32 v23, v60, v23
	v_or_b32_e32 v27, v61, v27
	v_fma_f64 v[60:61], v[70:71], 2.0, -v[36:37]
	v_and_b32_e32 v23, 0xffff, v23
	v_fma_f64 v[68:69], v[78:79], 2.0, -v[44:45]
	v_add_f64 v[52:53], v[86:87], -v[54:55]
	v_add_f64 v[54:55], v[88:89], -v[56:57]
	v_mov_b32_e32 v56, 0x60
	v_mul_lo_u16 v57, 0x60, v8
	v_fma_f64 v[64:65], v[66:67], 2.0, -v[40:41]
	v_fma_f64 v[66:67], v[76:77], 2.0, -v[42:43]
	;; [unrolled: 1-line block ×3, first 2 shown]
	v_mul_u32_u24_sdwa v24, v24, v56 dst_sel:DWORD dst_unused:UNUSED_PAD src0_sel:WORD_0 src1_sel:DWORD
	v_sub_nc_u16 v22, v0, v57
	v_fma_f64 v[56:57], v[58:59], 2.0, -v[32:33]
	v_fma_f64 v[58:59], v[62:63], 2.0, -v[34:35]
	;; [unrolled: 1-line block ×5, first 2 shown]
	v_or_b32_sdwa v24, v24, v25 dst_sel:DWORD dst_unused:UNUSED_PAD src0_sel:DWORD src1_sel:BYTE_0
	v_mul_u32_u24_sdwa v21, v22, v21 dst_sel:DWORD dst_unused:UNUSED_PAD src0_sel:BYTE_0 src1_sel:DWORD
	v_and_b32_e32 v25, 0xffff, v27
	v_lshl_add_u32 v24, v24, 4, 0
	v_lshlrev_b32_e32 v27, 4, v21
	v_lshl_add_u32 v21, v23, 4, 0
	v_fma_f64 v[76:77], v[86:87], 2.0, -v[52:53]
	v_fma_f64 v[78:79], v[88:89], 2.0, -v[54:55]
	v_lshl_add_u32 v23, v25, 4, 0
	ds_write_b128 v24, v[32:35] offset:1152
	ds_write_b128 v24, v[56:59] offset:384
	;; [unrolled: 1-line block ×3, first 2 shown]
	ds_write_b128 v24, v[64:67]
	ds_write_b128 v21, v[68:71]
	ds_write_b128 v21, v[60:63] offset:384
	ds_write_b128 v21, v[44:47] offset:768
	;; [unrolled: 1-line block ×3, first 2 shown]
	ds_write_b128 v23, v[76:79]
	ds_write_b128 v23, v[72:75] offset:384
	ds_write_b128 v23, v[52:55] offset:768
	;; [unrolled: 1-line block ×3, first 2 shown]
	s_waitcnt lgkmcnt(0)
	s_barrier
	buffer_gl0_inv
	global_load_dwordx4 v[32:35], v27, s[12:13] offset:1440
	v_lshrrev_b32_e32 v21, 22, v4
	s_clause 0x1
	global_load_dwordx4 v[36:39], v27, s[12:13] offset:1456
	global_load_dwordx4 v[40:43], v27, s[12:13] offset:1472
	v_lshrrev_b32_e32 v25, 22, v5
	v_mul_lo_u16 v4, 0x60, v21
	v_mul_lo_u16 v21, 0x180, v21
	;; [unrolled: 1-line block ×3, first 2 shown]
	v_sub_nc_u16 v4, v13, v4
	v_sub_nc_u16 v5, v19, v5
	v_mul_lo_u16 v23, v4, 3
	v_lshlrev_b32_sdwa v23, v3, v23 dst_sel:DWORD dst_unused:UNUSED_PAD src0_sel:DWORD src1_sel:WORD_0
	s_clause 0x2
	global_load_dwordx4 v[44:47], v23, s[12:13] offset:1440
	global_load_dwordx4 v[48:51], v23, s[12:13] offset:1456
	;; [unrolled: 1-line block ×3, first 2 shown]
	v_mul_lo_u16 v23, v5, 3
	v_mov_b32_e32 v27, 0x180
	v_lshlrev_b32_sdwa v3, v3, v23 dst_sel:DWORD dst_unused:UNUSED_PAD src0_sel:DWORD src1_sel:WORD_0
	s_clause 0x2
	global_load_dwordx4 v[56:59], v3, s[12:13] offset:1440
	global_load_dwordx4 v[60:63], v3, s[12:13] offset:1456
	;; [unrolled: 1-line block ×3, first 2 shown]
	ds_read_b128 v[68:71], v29
	ds_read_b128 v[72:75], v28 offset:28672
	ds_read_b128 v[76:79], v28 offset:24576
	;; [unrolled: 1-line block ×5, first 2 shown]
	v_mul_u32_u24_e32 v3, 3, v0
	v_mul_u32_u24_sdwa v8, v8, v27 dst_sel:DWORD dst_unused:UNUSED_PAD src0_sel:WORD_0 src1_sel:DWORD
	v_lshlrev_b32_e32 v3, 4, v3
	v_or_b32_sdwa v8, v8, v22 dst_sel:DWORD dst_unused:UNUSED_PAD src0_sel:DWORD src1_sel:BYTE_0
	v_lshl_add_u32 v8, v8, 4, 0
	s_waitcnt vmcnt(8) lgkmcnt(5)
	v_mul_f64 v[23:24], v[70:71], v[34:35]
	v_mul_f64 v[34:35], v[68:69], v[34:35]
	s_waitcnt vmcnt(7) lgkmcnt(3)
	v_mul_f64 v[92:93], v[78:79], v[38:39]
	v_mul_f64 v[38:39], v[76:77], v[38:39]
	v_fma_f64 v[23:24], v[68:69], v[32:33], v[23:24]
	v_fma_f64 v[68:69], v[70:71], v[32:33], -v[34:35]
	ds_read_b128 v[32:35], v28 offset:16384
	s_waitcnt vmcnt(6) lgkmcnt(3)
	v_mul_f64 v[70:71], v[82:83], v[42:43]
	v_mul_f64 v[42:43], v[80:81], v[42:43]
	v_fma_f64 v[76:77], v[76:77], v[36:37], v[92:93]
	v_fma_f64 v[78:79], v[78:79], v[36:37], -v[38:39]
	ds_read_b128 v[36:39], v28
	s_waitcnt vmcnt(5) lgkmcnt(1)
	v_mul_f64 v[92:93], v[34:35], v[46:47]
	v_mul_f64 v[46:47], v[32:33], v[46:47]
	v_fma_f64 v[70:71], v[80:81], v[40:41], v[70:71]
	v_fma_f64 v[80:81], v[82:83], v[40:41], -v[42:43]
	ds_read_b128 v[40:43], v28 offset:40960
	s_waitcnt vmcnt(4)
	v_mul_f64 v[82:83], v[74:75], v[50:51]
	v_mul_f64 v[50:51], v[72:73], v[50:51]
	v_fma_f64 v[92:93], v[32:33], v[44:45], v[92:93]
	v_fma_f64 v[94:95], v[34:35], v[44:45], -v[46:47]
	ds_read_b128 v[32:35], v28 offset:45056
	s_waitcnt vmcnt(3) lgkmcnt(1)
	v_mul_f64 v[44:45], v[42:43], v[54:55]
	v_mul_f64 v[46:47], v[40:41], v[54:55]
	v_fma_f64 v[54:55], v[72:73], v[48:49], v[82:83]
	v_fma_f64 v[48:49], v[74:75], v[48:49], -v[50:51]
	s_waitcnt vmcnt(2)
	v_mul_f64 v[50:51], v[86:87], v[58:59]
	v_mul_f64 v[58:59], v[84:85], v[58:59]
	s_waitcnt vmcnt(1)
	v_mul_f64 v[72:73], v[90:91], v[62:63]
	v_mul_f64 v[62:63], v[88:89], v[62:63]
	s_waitcnt vmcnt(0) lgkmcnt(0)
	v_mul_f64 v[82:83], v[34:35], v[66:67]
	v_mul_f64 v[66:67], v[32:33], v[66:67]
	v_fma_f64 v[74:75], v[40:41], v[52:53], v[44:45]
	v_fma_f64 v[52:53], v[42:43], v[52:53], -v[46:47]
	ds_read_b128 v[40:43], v2
	ds_read_b128 v[44:47], v31
	s_waitcnt lgkmcnt(0)
	s_barrier
	v_fma_f64 v[50:51], v[84:85], v[56:57], v[50:51]
	v_fma_f64 v[56:57], v[86:87], v[56:57], -v[58:59]
	v_fma_f64 v[58:59], v[88:89], v[60:61], v[72:73]
	v_fma_f64 v[60:61], v[90:91], v[60:61], -v[62:63]
	v_add_f64 v[62:63], v[36:37], -v[76:77]
	buffer_gl0_inv
	v_fma_f64 v[32:33], v[32:33], v[64:65], v[82:83]
	v_fma_f64 v[34:35], v[34:35], v[64:65], -v[66:67]
	v_add_f64 v[64:65], v[38:39], -v[78:79]
	v_add_f64 v[66:67], v[23:24], -v[70:71]
	;; [unrolled: 1-line block ×9, first 2 shown]
	v_fma_f64 v[60:61], v[36:37], 2.0, -v[62:63]
	v_add_f64 v[58:59], v[50:51], -v[32:33]
	v_add_f64 v[54:55], v[56:57], -v[34:35]
	v_fma_f64 v[80:81], v[38:39], 2.0, -v[64:65]
	v_fma_f64 v[23:24], v[23:24], 2.0, -v[66:67]
	;; [unrolled: 1-line block ×7, first 2 shown]
	v_add_f64 v[32:33], v[62:63], v[70:71]
	v_fma_f64 v[88:89], v[44:45], 2.0, -v[74:75]
	v_fma_f64 v[90:91], v[46:47], 2.0, -v[78:79]
	v_add_f64 v[34:35], v[64:65], -v[66:67]
	v_add_f64 v[36:37], v[72:73], v[52:53]
	v_fma_f64 v[50:51], v[50:51], 2.0, -v[58:59]
	v_fma_f64 v[56:57], v[56:57], 2.0, -v[54:55]
	v_add_f64 v[40:41], v[60:61], -v[23:24]
	v_add_f64 v[42:43], v[80:81], -v[38:39]
	;; [unrolled: 1-line block ×3, first 2 shown]
	v_add_f64 v[48:49], v[74:75], v[54:55]
	v_add_f64 v[44:45], v[68:69], -v[84:85]
	v_add_f64 v[46:47], v[82:83], -v[86:87]
	v_mul_lo_u16 v23, 0x180, v25
	v_add_co_u32 v25, s0, s12, v3
	v_or_b32_e32 v3, v21, v4
	v_fma_f64 v[21:22], v[62:63], 2.0, -v[32:33]
	v_or_b32_e32 v4, v23, v5
	v_fma_f64 v[23:24], v[64:65], 2.0, -v[34:35]
	v_add_co_ci_u32_e64 v27, null, s13, 0, s0
	v_and_b32_e32 v5, 0xffff, v3
	v_add_co_u32 v3, s0, 0x1000, v25
	v_add_f64 v[52:53], v[88:89], -v[50:51]
	v_add_f64 v[54:55], v[90:91], -v[56:57]
	;; [unrolled: 1-line block ×3, first 2 shown]
	v_fma_f64 v[60:61], v[60:61], 2.0, -v[40:41]
	v_fma_f64 v[62:63], v[80:81], 2.0, -v[42:43]
	;; [unrolled: 1-line block ×7, first 2 shown]
	v_and_b32_e32 v76, 0xffff, v4
	v_add_co_ci_u32_e64 v4, s0, 0, v27, s0
	v_lshl_add_u32 v5, v5, 4, 0
	v_cmp_gt_u32_e64 s0, 0x180, v13
	v_lshl_add_u32 v76, v76, 4, 0
	v_fma_f64 v[72:73], v[88:89], 2.0, -v[52:53]
	v_fma_f64 v[74:75], v[90:91], 2.0, -v[54:55]
	;; [unrolled: 1-line block ×3, first 2 shown]
	ds_write_b128 v8, v[32:35] offset:4608
	ds_write_b128 v8, v[21:24] offset:1536
	;; [unrolled: 1-line block ×3, first 2 shown]
	ds_write_b128 v8, v[60:63]
	ds_write_b128 v5, v[64:67]
	ds_write_b128 v5, v[56:59] offset:1536
	ds_write_b128 v5, v[44:47] offset:3072
	;; [unrolled: 1-line block ×3, first 2 shown]
	ds_write_b128 v76, v[72:75]
	ds_write_b128 v76, v[68:71] offset:1536
	ds_write_b128 v76, v[52:55] offset:3072
	;; [unrolled: 1-line block ×3, first 2 shown]
	s_waitcnt lgkmcnt(0)
	s_barrier
	buffer_gl0_inv
	global_load_dwordx4 v[21:24], v[3:4], off offset:1952
	v_add_nc_u32_e32 v3, 0xffffff80, v0
	v_mov_b32_e32 v37, 0
	v_cndmask_b32_e64 v5, v3, v13, s0
	v_add_co_u32 v3, s0, 0x17a0, v25
	v_add_co_ci_u32_e64 v4, s0, 0, v27, s0
	v_mul_i32_i24_e32 v36, 3, v5
	global_load_dwordx4 v[32:35], v[3:4], off offset:16
	v_lshlrev_b64 v[40:41], 4, v[36:37]
	global_load_dwordx4 v[36:39], v[3:4], off offset:32
	v_add_co_u32 v8, s0, s12, v40
	v_add_co_ci_u32_e64 v44, s0, s13, v41, s0
	v_add_co_u32 v3, s0, 0x1000, v8
	v_add_co_ci_u32_e64 v4, s0, 0, v44, s0
	global_load_dwordx4 v[40:43], v[3:4], off offset:1952
	v_add_co_u32 v3, s0, 0x17a0, v8
	v_add_co_ci_u32_e64 v4, s0, 0, v44, s0
	v_add_co_u32 v52, s0, 0x2800, v25
	v_add_co_ci_u32_e64 v53, s0, 0, v27, s0
	s_clause 0x1
	global_load_dwordx4 v[44:47], v[3:4], off offset:16
	global_load_dwordx4 v[48:51], v[3:4], off offset:32
	v_add_co_u32 v3, s0, 0x2fa0, v25
	v_add_co_ci_u32_e64 v4, s0, 0, v27, s0
	s_clause 0x2
	global_load_dwordx4 v[52:55], v[52:53], off offset:1952
	global_load_dwordx4 v[56:59], v[3:4], off offset:16
	;; [unrolled: 1-line block ×3, first 2 shown]
	ds_read_b128 v[64:67], v29
	ds_read_b128 v[68:71], v28 offset:28672
	ds_read_b128 v[72:75], v28 offset:24576
	;; [unrolled: 1-line block ×5, first 2 shown]
	v_cmp_lt_u32_e64 s0, 0x17f, v13
	s_waitcnt vmcnt(8) lgkmcnt(5)
	v_mul_f64 v[3:4], v[66:67], v[23:24]
	v_mul_f64 v[23:24], v[64:65], v[23:24]
	s_waitcnt vmcnt(7) lgkmcnt(3)
	v_mul_f64 v[88:89], v[74:75], v[34:35]
	v_mul_f64 v[34:35], v[72:73], v[34:35]
	v_fma_f64 v[90:91], v[64:65], v[21:22], v[3:4]
	v_fma_f64 v[92:93], v[66:67], v[21:22], -v[23:24]
	ds_read_b128 v[21:24], v28 offset:16384
	ds_read_b128 v[64:67], v28
	s_waitcnt vmcnt(6) lgkmcnt(4)
	v_mul_f64 v[3:4], v[78:79], v[38:39]
	v_mul_f64 v[38:39], v[76:77], v[38:39]
	v_fma_f64 v[72:73], v[72:73], v[32:33], v[88:89]
	v_fma_f64 v[74:75], v[74:75], v[32:33], -v[34:35]
	ds_read_b128 v[32:35], v28 offset:40960
	s_waitcnt vmcnt(5) lgkmcnt(2)
	v_mul_f64 v[88:89], v[23:24], v[42:43]
	v_mul_f64 v[42:43], v[21:22], v[42:43]
	v_fma_f64 v[3:4], v[76:77], v[36:37], v[3:4]
	v_fma_f64 v[76:77], v[78:79], v[36:37], -v[38:39]
	ds_read_b128 v[36:39], v28 offset:45056
	s_waitcnt vmcnt(4)
	v_mul_f64 v[78:79], v[70:71], v[46:47]
	v_mul_f64 v[46:47], v[68:69], v[46:47]
	v_fma_f64 v[88:89], v[21:22], v[40:41], v[88:89]
	v_fma_f64 v[40:41], v[23:24], v[40:41], -v[42:43]
	s_waitcnt vmcnt(3) lgkmcnt(1)
	v_mul_f64 v[21:22], v[34:35], v[50:51]
	v_mul_f64 v[23:24], v[32:33], v[50:51]
	s_waitcnt vmcnt(2)
	v_mul_f64 v[42:43], v[82:83], v[54:55]
	v_mul_f64 v[50:51], v[80:81], v[54:55]
	v_fma_f64 v[54:55], v[68:69], v[44:45], v[78:79]
	v_fma_f64 v[44:45], v[70:71], v[44:45], -v[46:47]
	s_waitcnt vmcnt(1)
	v_mul_f64 v[46:47], v[86:87], v[58:59]
	v_mul_f64 v[58:59], v[84:85], v[58:59]
	s_waitcnt vmcnt(0) lgkmcnt(0)
	v_mul_f64 v[68:69], v[38:39], v[62:63]
	v_mul_f64 v[62:63], v[36:37], v[62:63]
	v_fma_f64 v[70:71], v[32:33], v[48:49], v[21:22]
	v_fma_f64 v[48:49], v[34:35], v[48:49], -v[23:24]
	ds_read_b128 v[21:24], v2
	ds_read_b128 v[32:35], v31
	v_fma_f64 v[42:43], v[80:81], v[52:53], v[42:43]
	v_fma_f64 v[50:51], v[82:83], v[52:53], -v[50:51]
	s_waitcnt lgkmcnt(0)
	s_barrier
	v_fma_f64 v[46:47], v[84:85], v[56:57], v[46:47]
	v_fma_f64 v[52:53], v[86:87], v[56:57], -v[58:59]
	v_fma_f64 v[36:37], v[36:37], v[60:61], v[68:69]
	v_fma_f64 v[38:39], v[38:39], v[60:61], -v[62:63]
	v_add_f64 v[56:57], v[64:65], -v[72:73]
	v_add_f64 v[58:59], v[66:67], -v[74:75]
	;; [unrolled: 1-line block ×4, first 2 shown]
	v_lshlrev_b64 v[3:4], 4, v[0:1]
	v_cndmask_b32_e64 v1, 0, 0x600, s0
	buffer_gl0_inv
	v_add_f64 v[68:69], v[21:22], -v[54:55]
	v_add_f64 v[72:73], v[23:24], -v[44:45]
	v_add_f64 v[44:45], v[88:89], -v[70:71]
	v_add_f64 v[48:49], v[40:41], -v[48:49]
	v_or_b32_e32 v1, v1, v5
	v_add_f64 v[74:75], v[32:33], -v[46:47]
	v_add_f64 v[80:81], v[34:35], -v[52:53]
	;; [unrolled: 1-line block ×4, first 2 shown]
	v_fma_f64 v[64:65], v[64:65], 2.0, -v[56:57]
	v_fma_f64 v[66:67], v[66:67], 2.0, -v[58:59]
	;; [unrolled: 1-line block ×4, first 2 shown]
	v_lshl_add_u32 v1, v1, 4, 0
	v_fma_f64 v[76:77], v[21:22], 2.0, -v[68:69]
	v_fma_f64 v[78:79], v[23:24], 2.0, -v[72:73]
	v_fma_f64 v[82:83], v[88:89], 2.0, -v[44:45]
	v_fma_f64 v[84:85], v[40:41], 2.0, -v[48:49]
	v_add_f64 v[38:39], v[72:73], -v[44:45]
	v_add_f64 v[36:37], v[68:69], v[48:49]
	v_lshlrev_b64 v[24:25], 4, v[13:14]
	v_lshlrev_b64 v[22:23], 4, v[19:20]
	v_fma_f64 v[86:87], v[32:33], 2.0, -v[74:75]
	v_fma_f64 v[88:89], v[34:35], 2.0, -v[80:81]
	;; [unrolled: 1-line block ×4, first 2 shown]
	v_add_f64 v[32:33], v[56:57], v[62:63]
	v_add_f64 v[34:35], v[58:59], -v[60:61]
	v_add_f64 v[42:43], v[80:81], -v[46:47]
	;; [unrolled: 1-line block ×4, first 2 shown]
	v_add_f64 v[40:41], v[74:75], v[52:53]
	v_lshlrev_b64 v[20:21], 4, v[17:18]
	v_lshlrev_b64 v[18:19], 4, v[15:16]
	;; [unrolled: 1-line block ×3, first 2 shown]
	v_add_co_u32 v7, s0, s12, v3
	v_add_co_ci_u32_e64 v8, s0, s13, v4, s0
	v_add_f64 v[48:49], v[76:77], -v[82:83]
	v_add_f64 v[50:51], v[78:79], -v[84:85]
	v_fma_f64 v[60:61], v[68:69], 2.0, -v[36:37]
	v_fma_f64 v[62:63], v[72:73], 2.0, -v[38:39]
	v_add_co_u32 v14, s0, s12, v24
	v_add_co_ci_u32_e64 v27, s0, s13, v25, s0
	v_add_f64 v[52:53], v[86:87], -v[90:91]
	v_add_f64 v[54:55], v[88:89], -v[92:93]
	v_fma_f64 v[56:57], v[56:57], 2.0, -v[32:33]
	v_fma_f64 v[58:59], v[58:59], 2.0, -v[34:35]
	;; [unrolled: 1-line block ×4, first 2 shown]
	v_add_co_u32 v82, s0, s12, v22
	v_fma_f64 v[72:73], v[74:75], 2.0, -v[40:41]
	v_fma_f64 v[74:75], v[80:81], 2.0, -v[42:43]
	v_add_co_ci_u32_e64 v83, s0, s13, v23, s0
	v_add_co_u32 v84, s0, s12, v20
	v_fma_f64 v[68:69], v[76:77], 2.0, -v[48:49]
	v_fma_f64 v[70:71], v[78:79], 2.0, -v[50:51]
	v_add_co_ci_u32_e64 v85, s0, s13, v21, s0
	v_add_co_u32 v7, s0, 0x5800, v7
	v_add_co_ci_u32_e64 v8, s0, 0, v8, s0
	v_fma_f64 v[76:77], v[86:87], 2.0, -v[52:53]
	v_fma_f64 v[78:79], v[88:89], 2.0, -v[54:55]
	v_add_co_u32 v80, s0, 0x5800, v14
	ds_write_b128 v28, v[32:35] offset:18432
	ds_write_b128 v28, v[56:59] offset:6144
	ds_write_b128 v28, v[44:47] offset:12288
	ds_write_b128 v28, v[64:67]
	ds_write_b128 v1, v[68:71]
	ds_write_b128 v1, v[60:63] offset:6144
	ds_write_b128 v1, v[48:51] offset:12288
	;; [unrolled: 1-line block ×7, first 2 shown]
	s_waitcnt lgkmcnt(0)
	s_barrier
	buffer_gl0_inv
	global_load_dwordx4 v[32:35], v[7:8], off offset:1952
	v_add_co_ci_u32_e64 v81, s0, 0, v27, s0
	v_add_co_u32 v1, s0, s12, v18
	v_add_co_ci_u32_e64 v5, s0, s13, v19, s0
	global_load_dwordx4 v[36:39], v[80:81], off offset:1952
	v_add_co_u32 v14, s0, s12, v16
	v_add_co_ci_u32_e64 v27, s0, s13, v17, s0
	v_add_co_u32 v7, s0, 0x5800, v82
	v_add_co_ci_u32_e64 v8, s0, 0, v83, s0
	v_add_co_u32 v44, s0, 0x5800, v84
	v_add_co_ci_u32_e64 v45, s0, 0, v85, s0
	v_add_co_u32 v48, s0, 0x5800, v1
	v_add_co_ci_u32_e64 v49, s0, 0, v5, s0
	s_clause 0x1
	global_load_dwordx4 v[40:43], v[7:8], off offset:1952
	global_load_dwordx4 v[44:47], v[44:45], off offset:1952
	v_add_co_u32 v7, s0, 0x5800, v14
	v_add_co_ci_u32_e64 v8, s0, 0, v27, s0
	s_clause 0x1
	global_load_dwordx4 v[48:51], v[48:49], off offset:1952
	global_load_dwordx4 v[52:55], v[7:8], off offset:1952
	ds_read_b128 v[56:59], v28 offset:24576
	ds_read_b128 v[60:63], v28 offset:28672
	ds_read_b128 v[64:67], v28
	ds_read_b128 v[68:71], v28 offset:32768
	ds_read_b128 v[72:75], v28 offset:36864
	ds_read_b128 v[76:79], v29
	ds_read_b128 v[80:83], v28 offset:40960
	ds_read_b128 v[84:87], v28 offset:45056
	s_waitcnt vmcnt(5) lgkmcnt(7)
	v_mul_f64 v[7:8], v[58:59], v[34:35]
	v_mul_f64 v[34:35], v[56:57], v[34:35]
	s_waitcnt vmcnt(4) lgkmcnt(6)
	v_mul_f64 v[88:89], v[62:63], v[38:39]
	v_mul_f64 v[38:39], v[60:61], v[38:39]
	v_fma_f64 v[56:57], v[56:57], v[32:33], v[7:8]
	s_waitcnt vmcnt(3) lgkmcnt(4)
	v_mul_f64 v[90:91], v[70:71], v[42:43]
	v_fma_f64 v[58:59], v[58:59], v[32:33], -v[34:35]
	v_mul_f64 v[34:35], v[68:69], v[42:43]
	s_waitcnt vmcnt(2) lgkmcnt(3)
	v_mul_f64 v[42:43], v[74:75], v[46:47]
	v_mul_f64 v[46:47], v[72:73], v[46:47]
	v_lshl_add_u32 v33, v15, 4, 0
	v_fma_f64 v[60:61], v[60:61], v[36:37], v[88:89]
	s_waitcnt vmcnt(1) lgkmcnt(1)
	v_mul_f64 v[92:93], v[82:83], v[50:51]
	v_mul_f64 v[50:51], v[80:81], v[50:51]
	s_waitcnt vmcnt(0) lgkmcnt(0)
	v_mul_f64 v[88:89], v[86:87], v[54:55]
	v_mul_f64 v[54:55], v[84:85], v[54:55]
	v_fma_f64 v[62:63], v[62:63], v[36:37], -v[38:39]
	v_lshl_add_u32 v32, v6, 4, 0
	ds_read_b128 v[5:8], v2
	v_fma_f64 v[14:15], v[68:69], v[40:41], v[90:91]
	v_fma_f64 v[68:69], v[70:71], v[40:41], -v[34:35]
	v_fma_f64 v[70:71], v[72:73], v[44:45], v[42:43]
	v_fma_f64 v[72:73], v[74:75], v[44:45], -v[46:47]
	ds_read_b128 v[34:37], v31
	ds_read_b128 v[38:41], v33
	;; [unrolled: 1-line block ×3, first 2 shown]
	v_fma_f64 v[74:75], v[80:81], v[48:49], v[92:93]
	v_fma_f64 v[80:81], v[82:83], v[48:49], -v[50:51]
	v_fma_f64 v[82:83], v[84:85], v[52:53], v[88:89]
	v_fma_f64 v[84:85], v[86:87], v[52:53], -v[54:55]
	v_add_f64 v[46:47], v[64:65], -v[56:57]
	v_add_f64 v[48:49], v[66:67], -v[58:59]
	s_waitcnt lgkmcnt(3)
	v_add_f64 v[50:51], v[5:6], -v[60:61]
	v_add_f64 v[52:53], v[7:8], -v[62:63]
	s_waitcnt lgkmcnt(0)
	s_barrier
	buffer_gl0_inv
	v_add_f64 v[54:55], v[34:35], -v[14:15]
	v_add_f64 v[56:57], v[36:37], -v[68:69]
	;; [unrolled: 1-line block ×4, first 2 shown]
                                        ; implicit-def: $vgpr14_vgpr15
	v_add_f64 v[68:69], v[38:39], -v[74:75]
	v_add_f64 v[70:71], v[40:41], -v[80:81]
	;; [unrolled: 1-line block ×4, first 2 shown]
	v_fma_f64 v[62:63], v[64:65], 2.0, -v[46:47]
	v_fma_f64 v[64:65], v[66:67], 2.0, -v[48:49]
	;; [unrolled: 1-line block ×12, first 2 shown]
	ds_write_b128 v28, v[46:49] offset:24576
	ds_write_b128 v28, v[62:65]
	ds_write_b128 v2, v[5:8]
	ds_write_b128 v2, v[50:53] offset:24576
	ds_write_b128 v31, v[34:37]
	ds_write_b128 v31, v[54:57] offset:24576
	;; [unrolled: 2-line block ×5, first 2 shown]
	s_waitcnt lgkmcnt(0)
	s_barrier
	buffer_gl0_inv
	ds_read_b128 v[5:8], v28
	v_sub_nc_u32_e32 v34, 0, v26
                                        ; implicit-def: $vgpr1_vgpr2
                                        ; implicit-def: $vgpr26_vgpr27
	v_cmpx_ne_u32_e32 0, v0
	s_xor_b32 s5, exec_lo, s5
	s_cbranch_execz .LBB0_15
; %bb.14:
	v_add_co_u32 v1, s0, s1, v3
	v_add_co_ci_u32_e64 v2, s0, s4, v4, s0
	global_load_dwordx4 v[35:38], v[1:2], off
	ds_read_b128 v[1:4], v34 offset:49152
	s_waitcnt lgkmcnt(0)
	v_add_f64 v[14:15], v[5:6], -v[1:2]
	v_add_f64 v[26:27], v[7:8], v[3:4]
	v_add_f64 v[3:4], v[7:8], -v[3:4]
	v_add_f64 v[1:2], v[5:6], v[1:2]
	v_mul_f64 v[7:8], v[14:15], 0.5
	v_mul_f64 v[5:6], v[26:27], 0.5
	;; [unrolled: 1-line block ×3, first 2 shown]
	s_waitcnt vmcnt(0)
	v_mul_f64 v[14:15], v[7:8], v[37:38]
	v_fma_f64 v[26:27], v[5:6], v[37:38], v[3:4]
	v_fma_f64 v[3:4], v[5:6], v[37:38], -v[3:4]
	v_fma_f64 v[39:40], v[1:2], 0.5, v[14:15]
	v_fma_f64 v[1:2], v[1:2], 0.5, -v[14:15]
	v_fma_f64 v[26:27], -v[35:36], v[7:8], v[26:27]
	v_fma_f64 v[3:4], -v[35:36], v[7:8], v[3:4]
	v_fma_f64 v[14:15], v[5:6], v[35:36], v[39:40]
	v_fma_f64 v[1:2], -v[5:6], v[35:36], v[1:2]
                                        ; implicit-def: $vgpr5_vgpr6
.LBB0_15:
	s_or_saveexec_b32 s0, s5
	v_mul_i32_i24_e32 v13, 0xffffffb0, v13
	s_xor_b32 exec_lo, exec_lo, s0
	s_cbranch_execz .LBB0_17
; %bb.16:
	v_mov_b32_e32 v37, 0
	s_waitcnt lgkmcnt(0)
	v_add_f64 v[14:15], v[5:6], v[7:8]
	v_add_f64 v[1:2], v[5:6], -v[7:8]
	v_mov_b32_e32 v26, 0
	v_mov_b32_e32 v27, 0
	ds_read_b64 v[35:36], v37 offset:24584
	v_mov_b32_e32 v3, v26
	v_mov_b32_e32 v4, v27
	s_waitcnt lgkmcnt(0)
	v_xor_b32_e32 v36, 0x80000000, v36
	ds_write_b64 v37, v[35:36] offset:24584
.LBB0_17:
	s_or_b32 exec_lo, exec_lo, s0
	s_waitcnt lgkmcnt(0)
	v_add_co_u32 v5, s0, s1, v24
	v_add_co_ci_u32_e64 v6, s0, s4, v25, s0
	v_add_co_u32 v22, s0, s1, v22
	v_add_co_ci_u32_e64 v23, s0, s4, v23, s0
	global_load_dwordx4 v[5:8], v[5:6], off
	v_add_nc_u32_e32 v30, v30, v13
	v_add_co_u32 v13, s0, s1, v20
	global_load_dwordx4 v[22:25], v[22:23], off
	ds_write2_b64 v28, v[14:15], v[26:27] offset1:1
	ds_write_b128 v34, v[1:4] offset:49152
	v_add_co_ci_u32_e64 v14, s0, s4, v21, s0
	ds_read_b128 v[1:4], v30
	ds_read_b128 v[35:38], v34 offset:45056
	global_load_dwordx4 v[39:42], v[13:14], off
	s_waitcnt lgkmcnt(0)
	v_add_f64 v[13:14], v[1:2], -v[35:36]
	v_add_f64 v[20:21], v[3:4], v[37:38]
	v_add_f64 v[3:4], v[3:4], -v[37:38]
	v_add_f64 v[1:2], v[1:2], v[35:36]
	v_mul_f64 v[13:14], v[13:14], 0.5
	v_mul_f64 v[20:21], v[20:21], 0.5
	;; [unrolled: 1-line block ×3, first 2 shown]
	s_waitcnt vmcnt(2)
	v_mul_f64 v[26:27], v[13:14], v[7:8]
	v_fma_f64 v[35:36], v[20:21], v[7:8], v[3:4]
	v_fma_f64 v[3:4], v[20:21], v[7:8], -v[3:4]
	v_fma_f64 v[7:8], v[1:2], 0.5, v[26:27]
	v_fma_f64 v[1:2], v[1:2], 0.5, -v[26:27]
	v_fma_f64 v[26:27], -v[5:6], v[13:14], v[35:36]
	v_fma_f64 v[3:4], -v[5:6], v[13:14], v[3:4]
	v_add_co_u32 v13, s0, s1, v18
	v_add_co_ci_u32_e64 v14, s0, s4, v19, s0
	v_fma_f64 v[7:8], v[20:21], v[5:6], v[7:8]
	v_fma_f64 v[1:2], -v[20:21], v[5:6], v[1:2]
	ds_write_b64 v30, v[26:27] offset:8
	ds_write_b64 v34, v[3:4] offset:45064
	ds_write_b64 v30, v[7:8]
	ds_write_b64 v34, v[1:2] offset:45056
	ds_read_b128 v[1:4], v31
	ds_read_b128 v[5:8], v34 offset:40960
	global_load_dwordx4 v[18:21], v[13:14], off
	s_waitcnt lgkmcnt(0)
	v_add_f64 v[13:14], v[1:2], -v[5:6]
	v_add_f64 v[26:27], v[3:4], v[7:8]
	v_add_f64 v[3:4], v[3:4], -v[7:8]
	v_add_f64 v[1:2], v[1:2], v[5:6]
	v_mul_f64 v[7:8], v[13:14], 0.5
	v_mul_f64 v[13:14], v[26:27], 0.5
	;; [unrolled: 1-line block ×3, first 2 shown]
	s_waitcnt vmcnt(2)
	v_mul_f64 v[5:6], v[7:8], v[24:25]
	v_fma_f64 v[26:27], v[13:14], v[24:25], v[3:4]
	v_fma_f64 v[3:4], v[13:14], v[24:25], -v[3:4]
	v_fma_f64 v[24:25], v[1:2], 0.5, v[5:6]
	v_fma_f64 v[1:2], v[1:2], 0.5, -v[5:6]
	v_fma_f64 v[5:6], -v[22:23], v[7:8], v[26:27]
	v_fma_f64 v[3:4], -v[22:23], v[7:8], v[3:4]
	v_fma_f64 v[7:8], v[13:14], v[22:23], v[24:25]
	v_fma_f64 v[1:2], -v[13:14], v[22:23], v[1:2]
	v_add_co_u32 v13, s0, s1, v16
	v_add_co_ci_u32_e64 v14, s0, s4, v17, s0
	ds_write2_b64 v31, v[7:8], v[5:6] offset1:1
	ds_write_b128 v34, v[1:4] offset:40960
	ds_read_b128 v[1:4], v29
	ds_read_b128 v[5:8], v34 offset:36864
	global_load_dwordx4 v[13:16], v[13:14], off
	s_waitcnt lgkmcnt(0)
	v_add_f64 v[22:23], v[1:2], -v[5:6]
	v_add_f64 v[24:25], v[3:4], v[7:8]
	v_add_f64 v[3:4], v[3:4], -v[7:8]
	v_add_f64 v[1:2], v[1:2], v[5:6]
	v_mul_f64 v[7:8], v[22:23], 0.5
	v_mul_f64 v[22:23], v[24:25], 0.5
	;; [unrolled: 1-line block ×3, first 2 shown]
	s_waitcnt vmcnt(2)
	v_mul_f64 v[5:6], v[7:8], v[41:42]
	v_fma_f64 v[24:25], v[22:23], v[41:42], v[3:4]
	v_fma_f64 v[3:4], v[22:23], v[41:42], -v[3:4]
	v_fma_f64 v[26:27], v[1:2], 0.5, v[5:6]
	v_fma_f64 v[1:2], v[1:2], 0.5, -v[5:6]
	v_fma_f64 v[5:6], -v[39:40], v[7:8], v[24:25]
	v_fma_f64 v[3:4], -v[39:40], v[7:8], v[3:4]
	v_fma_f64 v[7:8], v[22:23], v[39:40], v[26:27]
	v_fma_f64 v[1:2], -v[22:23], v[39:40], v[1:2]
	ds_write2_b64 v29, v[7:8], v[5:6] offset1:1
	ds_write_b128 v34, v[1:4] offset:36864
	ds_read_b128 v[1:4], v33
	ds_read_b128 v[5:8], v34 offset:32768
	s_waitcnt lgkmcnt(0)
	v_add_f64 v[22:23], v[1:2], -v[5:6]
	v_add_f64 v[24:25], v[3:4], v[7:8]
	v_add_f64 v[3:4], v[3:4], -v[7:8]
	v_add_f64 v[1:2], v[1:2], v[5:6]
	v_mul_f64 v[7:8], v[22:23], 0.5
	v_mul_f64 v[22:23], v[24:25], 0.5
	v_mul_f64 v[3:4], v[3:4], 0.5
	s_waitcnt vmcnt(1)
	v_mul_f64 v[5:6], v[7:8], v[20:21]
	v_fma_f64 v[24:25], v[22:23], v[20:21], v[3:4]
	v_fma_f64 v[3:4], v[22:23], v[20:21], -v[3:4]
	v_fma_f64 v[20:21], v[1:2], 0.5, v[5:6]
	v_fma_f64 v[1:2], v[1:2], 0.5, -v[5:6]
	v_fma_f64 v[5:6], -v[18:19], v[7:8], v[24:25]
	v_fma_f64 v[3:4], -v[18:19], v[7:8], v[3:4]
	v_fma_f64 v[7:8], v[22:23], v[18:19], v[20:21]
	v_fma_f64 v[1:2], -v[22:23], v[18:19], v[1:2]
	ds_write2_b64 v33, v[7:8], v[5:6] offset1:1
	ds_write_b128 v34, v[1:4] offset:32768
	ds_read_b128 v[1:4], v32
	ds_read_b128 v[5:8], v34 offset:28672
	s_waitcnt lgkmcnt(0)
	v_add_f64 v[17:18], v[1:2], -v[5:6]
	v_add_f64 v[19:20], v[3:4], v[7:8]
	v_add_f64 v[3:4], v[3:4], -v[7:8]
	v_add_f64 v[1:2], v[1:2], v[5:6]
	v_mul_f64 v[7:8], v[17:18], 0.5
	v_mul_f64 v[17:18], v[19:20], 0.5
	;; [unrolled: 1-line block ×3, first 2 shown]
	s_waitcnt vmcnt(0)
	v_mul_f64 v[5:6], v[7:8], v[15:16]
	v_fma_f64 v[19:20], v[17:18], v[15:16], v[3:4]
	v_fma_f64 v[3:4], v[17:18], v[15:16], -v[3:4]
	v_fma_f64 v[15:16], v[1:2], 0.5, v[5:6]
	v_fma_f64 v[1:2], v[1:2], 0.5, -v[5:6]
	v_fma_f64 v[5:6], -v[13:14], v[7:8], v[19:20]
	v_fma_f64 v[3:4], -v[13:14], v[7:8], v[3:4]
	v_fma_f64 v[7:8], v[17:18], v[13:14], v[15:16]
	v_fma_f64 v[1:2], -v[17:18], v[13:14], v[1:2]
	ds_write2_b64 v32, v[7:8], v[5:6] offset1:1
	ds_write_b128 v34, v[1:4] offset:28672
	s_waitcnt lgkmcnt(0)
	s_barrier
	buffer_gl0_inv
	s_and_saveexec_b32 s0, vcc_lo
	s_cbranch_execz .LBB0_20
; %bb.18:
	v_mul_lo_u32 v4, s3, v11
	v_mul_lo_u32 v5, s2, v12
	v_mad_u64_u32 v[2:3], null, s2, v11, 0
	v_mov_b32_e32 v1, 0
	v_lshlrev_b64 v[12:13], 4, v[9:10]
	v_lshl_add_u32 v30, v0, 4, 0
	v_add_nc_u32_e32 v14, 0x100, v0
	v_add_nc_u32_e32 v16, 0x200, v0
	v_lshlrev_b64 v[18:19], 4, v[0:1]
	v_add3_u32 v3, v3, v5, v4
	v_mov_b32_e32 v15, v1
	v_mov_b32_e32 v17, v1
	ds_read_b128 v[4:7], v30
	ds_read_b128 v[8:11], v30 offset:4096
	v_add_nc_u32_e32 v26, 0x300, v0
	v_lshlrev_b64 v[2:3], 4, v[2:3]
	v_lshlrev_b64 v[20:21], 4, v[14:15]
	;; [unrolled: 1-line block ×3, first 2 shown]
	v_mov_b32_e32 v27, v1
	v_add_nc_u32_e32 v28, 0x400, v0
	v_mov_b32_e32 v29, v1
	v_add_co_u32 v2, vcc_lo, s10, v2
	v_add_co_ci_u32_e32 v3, vcc_lo, s11, v3, vcc_lo
	v_lshlrev_b64 v[26:27], 4, v[26:27]
	v_add_co_u32 v2, vcc_lo, v2, v12
	v_add_co_ci_u32_e32 v3, vcc_lo, v3, v13, vcc_lo
	v_add_co_u32 v24, vcc_lo, v2, v18
	v_add_co_ci_u32_e32 v25, vcc_lo, v3, v19, vcc_lo
	ds_read_b128 v[12:15], v30 offset:8192
	ds_read_b128 v[16:19], v30 offset:12288
	v_add_co_u32 v20, vcc_lo, v2, v20
	v_add_co_ci_u32_e32 v21, vcc_lo, v3, v21, vcc_lo
	v_add_co_u32 v22, vcc_lo, v2, v22
	v_add_co_ci_u32_e32 v23, vcc_lo, v3, v23, vcc_lo
	;; [unrolled: 2-line block ×3, first 2 shown]
	s_waitcnt lgkmcnt(3)
	global_store_dwordx4 v[24:25], v[4:7], off
	s_waitcnt lgkmcnt(2)
	global_store_dwordx4 v[20:21], v[8:11], off
	;; [unrolled: 2-line block ×4, first 2 shown]
	v_lshlrev_b64 v[4:5], 4, v[28:29]
	v_add_nc_u32_e32 v12, 0x500, v0
	v_mov_b32_e32 v13, v1
	v_add_nc_u32_e32 v14, 0x600, v0
	v_mov_b32_e32 v15, v1
	v_add_nc_u32_e32 v26, 0x700, v0
	v_add_co_u32 v20, vcc_lo, v2, v4
	v_add_co_ci_u32_e32 v21, vcc_lo, v3, v5, vcc_lo
	ds_read_b128 v[4:7], v30 offset:16384
	ds_read_b128 v[8:11], v30 offset:20480
	v_lshlrev_b64 v[22:23], 4, v[12:13]
	v_lshlrev_b64 v[24:25], 4, v[14:15]
	ds_read_b128 v[12:15], v30 offset:24576
	ds_read_b128 v[16:19], v30 offset:28672
	v_mov_b32_e32 v27, v1
	v_add_nc_u32_e32 v28, 0x800, v0
	v_add_co_u32 v22, vcc_lo, v2, v22
	v_lshlrev_b64 v[26:27], 4, v[26:27]
	v_add_co_ci_u32_e32 v23, vcc_lo, v3, v23, vcc_lo
	v_add_co_u32 v24, vcc_lo, v2, v24
	v_add_co_ci_u32_e32 v25, vcc_lo, v3, v25, vcc_lo
	v_add_co_u32 v26, vcc_lo, v2, v26
	v_add_co_ci_u32_e32 v27, vcc_lo, v3, v27, vcc_lo
	s_waitcnt lgkmcnt(3)
	global_store_dwordx4 v[20:21], v[4:7], off
	s_waitcnt lgkmcnt(2)
	global_store_dwordx4 v[22:23], v[8:11], off
	;; [unrolled: 2-line block ×4, first 2 shown]
	v_lshlrev_b64 v[4:5], 4, v[28:29]
	v_add_nc_u32_e32 v12, 0x900, v0
	v_mov_b32_e32 v13, v1
	v_add_nc_u32_e32 v14, 0xa00, v0
	v_mov_b32_e32 v15, v1
	v_add_nc_u32_e32 v26, 0xb00, v0
	v_add_co_u32 v20, vcc_lo, v2, v4
	v_add_co_ci_u32_e32 v21, vcc_lo, v3, v5, vcc_lo
	ds_read_b128 v[4:7], v30 offset:32768
	ds_read_b128 v[8:11], v30 offset:36864
	v_lshlrev_b64 v[22:23], 4, v[12:13]
	v_lshlrev_b64 v[24:25], 4, v[14:15]
	ds_read_b128 v[12:15], v30 offset:40960
	ds_read_b128 v[16:19], v30 offset:45056
	v_mov_b32_e32 v27, v1
	v_add_co_u32 v22, vcc_lo, v2, v22
	v_lshlrev_b64 v[26:27], 4, v[26:27]
	v_add_co_ci_u32_e32 v23, vcc_lo, v3, v23, vcc_lo
	v_add_co_u32 v24, vcc_lo, v2, v24
	v_add_co_ci_u32_e32 v25, vcc_lo, v3, v25, vcc_lo
	v_add_co_u32 v26, vcc_lo, v2, v26
	v_add_co_ci_u32_e32 v27, vcc_lo, v3, v27, vcc_lo
	v_cmp_eq_u32_e32 vcc_lo, 0xff, v0
	s_waitcnt lgkmcnt(3)
	global_store_dwordx4 v[20:21], v[4:7], off
	s_waitcnt lgkmcnt(2)
	global_store_dwordx4 v[22:23], v[8:11], off
	;; [unrolled: 2-line block ×4, first 2 shown]
	s_and_b32 exec_lo, exec_lo, vcc_lo
	s_cbranch_execz .LBB0_20
; %bb.19:
	ds_read_b128 v[4:7], v1 offset:49152
	v_add_co_u32 v0, vcc_lo, 0xc000, v2
	v_add_co_ci_u32_e32 v1, vcc_lo, 0, v3, vcc_lo
	s_waitcnt lgkmcnt(0)
	global_store_dwordx4 v[0:1], v[4:7], off
.LBB0_20:
	s_endpgm
	.section	.rodata,"a",@progbits
	.p2align	6, 0x0
	.amdhsa_kernel fft_rtc_back_len3072_factors_6_4_4_4_4_2_wgs_256_tpt_256_halfLds_dp_op_CI_CI_unitstride_sbrr_R2C_dirReg
		.amdhsa_group_segment_fixed_size 0
		.amdhsa_private_segment_fixed_size 0
		.amdhsa_kernarg_size 104
		.amdhsa_user_sgpr_count 6
		.amdhsa_user_sgpr_private_segment_buffer 1
		.amdhsa_user_sgpr_dispatch_ptr 0
		.amdhsa_user_sgpr_queue_ptr 0
		.amdhsa_user_sgpr_kernarg_segment_ptr 1
		.amdhsa_user_sgpr_dispatch_id 0
		.amdhsa_user_sgpr_flat_scratch_init 0
		.amdhsa_user_sgpr_private_segment_size 0
		.amdhsa_wavefront_size32 1
		.amdhsa_uses_dynamic_stack 0
		.amdhsa_system_sgpr_private_segment_wavefront_offset 0
		.amdhsa_system_sgpr_workgroup_id_x 1
		.amdhsa_system_sgpr_workgroup_id_y 0
		.amdhsa_system_sgpr_workgroup_id_z 0
		.amdhsa_system_sgpr_workgroup_info 0
		.amdhsa_system_vgpr_workitem_id 0
		.amdhsa_next_free_vgpr 100
		.amdhsa_next_free_sgpr 27
		.amdhsa_reserve_vcc 1
		.amdhsa_reserve_flat_scratch 0
		.amdhsa_float_round_mode_32 0
		.amdhsa_float_round_mode_16_64 0
		.amdhsa_float_denorm_mode_32 3
		.amdhsa_float_denorm_mode_16_64 3
		.amdhsa_dx10_clamp 1
		.amdhsa_ieee_mode 1
		.amdhsa_fp16_overflow 0
		.amdhsa_workgroup_processor_mode 1
		.amdhsa_memory_ordered 1
		.amdhsa_forward_progress 0
		.amdhsa_shared_vgpr_count 0
		.amdhsa_exception_fp_ieee_invalid_op 0
		.amdhsa_exception_fp_denorm_src 0
		.amdhsa_exception_fp_ieee_div_zero 0
		.amdhsa_exception_fp_ieee_overflow 0
		.amdhsa_exception_fp_ieee_underflow 0
		.amdhsa_exception_fp_ieee_inexact 0
		.amdhsa_exception_int_div_zero 0
	.end_amdhsa_kernel
	.text
.Lfunc_end0:
	.size	fft_rtc_back_len3072_factors_6_4_4_4_4_2_wgs_256_tpt_256_halfLds_dp_op_CI_CI_unitstride_sbrr_R2C_dirReg, .Lfunc_end0-fft_rtc_back_len3072_factors_6_4_4_4_4_2_wgs_256_tpt_256_halfLds_dp_op_CI_CI_unitstride_sbrr_R2C_dirReg
                                        ; -- End function
	.section	.AMDGPU.csdata,"",@progbits
; Kernel info:
; codeLenInByte = 11016
; NumSgprs: 29
; NumVgprs: 100
; ScratchSize: 0
; MemoryBound: 0
; FloatMode: 240
; IeeeMode: 1
; LDSByteSize: 0 bytes/workgroup (compile time only)
; SGPRBlocks: 3
; VGPRBlocks: 12
; NumSGPRsForWavesPerEU: 29
; NumVGPRsForWavesPerEU: 100
; Occupancy: 9
; WaveLimiterHint : 1
; COMPUTE_PGM_RSRC2:SCRATCH_EN: 0
; COMPUTE_PGM_RSRC2:USER_SGPR: 6
; COMPUTE_PGM_RSRC2:TRAP_HANDLER: 0
; COMPUTE_PGM_RSRC2:TGID_X_EN: 1
; COMPUTE_PGM_RSRC2:TGID_Y_EN: 0
; COMPUTE_PGM_RSRC2:TGID_Z_EN: 0
; COMPUTE_PGM_RSRC2:TIDIG_COMP_CNT: 0
	.text
	.p2alignl 6, 3214868480
	.fill 48, 4, 3214868480
	.type	__hip_cuid_248b7efccad8d8df,@object ; @__hip_cuid_248b7efccad8d8df
	.section	.bss,"aw",@nobits
	.globl	__hip_cuid_248b7efccad8d8df
__hip_cuid_248b7efccad8d8df:
	.byte	0                               ; 0x0
	.size	__hip_cuid_248b7efccad8d8df, 1

	.ident	"AMD clang version 19.0.0git (https://github.com/RadeonOpenCompute/llvm-project roc-6.4.0 25133 c7fe45cf4b819c5991fe208aaa96edf142730f1d)"
	.section	".note.GNU-stack","",@progbits
	.addrsig
	.addrsig_sym __hip_cuid_248b7efccad8d8df
	.amdgpu_metadata
---
amdhsa.kernels:
  - .args:
      - .actual_access:  read_only
        .address_space:  global
        .offset:         0
        .size:           8
        .value_kind:     global_buffer
      - .offset:         8
        .size:           8
        .value_kind:     by_value
      - .actual_access:  read_only
        .address_space:  global
        .offset:         16
        .size:           8
        .value_kind:     global_buffer
      - .actual_access:  read_only
        .address_space:  global
        .offset:         24
        .size:           8
        .value_kind:     global_buffer
      - .actual_access:  read_only
        .address_space:  global
        .offset:         32
        .size:           8
        .value_kind:     global_buffer
      - .offset:         40
        .size:           8
        .value_kind:     by_value
      - .actual_access:  read_only
        .address_space:  global
        .offset:         48
        .size:           8
        .value_kind:     global_buffer
      - .actual_access:  read_only
        .address_space:  global
        .offset:         56
        .size:           8
        .value_kind:     global_buffer
      - .offset:         64
        .size:           4
        .value_kind:     by_value
      - .actual_access:  read_only
        .address_space:  global
        .offset:         72
        .size:           8
        .value_kind:     global_buffer
      - .actual_access:  read_only
        .address_space:  global
        .offset:         80
        .size:           8
        .value_kind:     global_buffer
      - .actual_access:  read_only
        .address_space:  global
        .offset:         88
        .size:           8
        .value_kind:     global_buffer
      - .actual_access:  write_only
        .address_space:  global
        .offset:         96
        .size:           8
        .value_kind:     global_buffer
    .group_segment_fixed_size: 0
    .kernarg_segment_align: 8
    .kernarg_segment_size: 104
    .language:       OpenCL C
    .language_version:
      - 2
      - 0
    .max_flat_workgroup_size: 256
    .name:           fft_rtc_back_len3072_factors_6_4_4_4_4_2_wgs_256_tpt_256_halfLds_dp_op_CI_CI_unitstride_sbrr_R2C_dirReg
    .private_segment_fixed_size: 0
    .sgpr_count:     29
    .sgpr_spill_count: 0
    .symbol:         fft_rtc_back_len3072_factors_6_4_4_4_4_2_wgs_256_tpt_256_halfLds_dp_op_CI_CI_unitstride_sbrr_R2C_dirReg.kd
    .uniform_work_group_size: 1
    .uses_dynamic_stack: false
    .vgpr_count:     100
    .vgpr_spill_count: 0
    .wavefront_size: 32
    .workgroup_processor_mode: 1
amdhsa.target:   amdgcn-amd-amdhsa--gfx1030
amdhsa.version:
  - 1
  - 2
...

	.end_amdgpu_metadata
